;; amdgpu-corpus repo=ROCm/rocFFT kind=compiled arch=gfx1100 opt=O3
	.text
	.amdgcn_target "amdgcn-amd-amdhsa--gfx1100"
	.amdhsa_code_object_version 6
	.protected	fft_rtc_fwd_len4096_factors_16_16_16_wgs_256_tpt_256_halfLds_half_op_CI_CI_unitstride_sbrr_R2C_dirReg ; -- Begin function fft_rtc_fwd_len4096_factors_16_16_16_wgs_256_tpt_256_halfLds_half_op_CI_CI_unitstride_sbrr_R2C_dirReg
	.globl	fft_rtc_fwd_len4096_factors_16_16_16_wgs_256_tpt_256_halfLds_half_op_CI_CI_unitstride_sbrr_R2C_dirReg
	.p2align	8
	.type	fft_rtc_fwd_len4096_factors_16_16_16_wgs_256_tpt_256_halfLds_half_op_CI_CI_unitstride_sbrr_R2C_dirReg,@function
fft_rtc_fwd_len4096_factors_16_16_16_wgs_256_tpt_256_halfLds_half_op_CI_CI_unitstride_sbrr_R2C_dirReg: ; @fft_rtc_fwd_len4096_factors_16_16_16_wgs_256_tpt_256_halfLds_half_op_CI_CI_unitstride_sbrr_R2C_dirReg
; %bb.0:
	s_clause 0x2
	s_load_b128 s[8:11], s[0:1], 0x0
	s_load_b128 s[4:7], s[0:1], 0x58
	;; [unrolled: 1-line block ×3, first 2 shown]
	v_mov_b32_e32 v4, 0
	v_mov_b32_e32 v14, 0
	v_dual_mov_b32 v15, 0 :: v_dual_mov_b32 v8, s15
	s_delay_alu instid0(VALU_DEP_3) | instskip(SKIP_2) | instid1(VALU_DEP_1)
	v_mov_b32_e32 v9, v4
	s_waitcnt lgkmcnt(0)
	v_cmp_lt_u64_e64 s2, s[10:11], 2
	s_and_b32 vcc_lo, exec_lo, s2
	s_cbranch_vccnz .LBB0_8
; %bb.1:
	s_load_b64 s[2:3], s[0:1], 0x10
	v_mov_b32_e32 v14, 0
	v_mov_b32_e32 v15, 0
	s_add_u32 s12, s18, 8
	s_addc_u32 s13, s19, 0
	s_add_u32 s14, s16, 8
	s_delay_alu instid0(VALU_DEP_1)
	v_dual_mov_b32 v2, v14 :: v_dual_mov_b32 v3, v15
	s_addc_u32 s15, s17, 0
	s_mov_b64 s[22:23], 1
	s_waitcnt lgkmcnt(0)
	s_add_u32 s20, s2, 8
	s_addc_u32 s21, s3, 0
.LBB0_2:                                ; =>This Inner Loop Header: Depth=1
	s_load_b64 s[24:25], s[20:21], 0x0
                                        ; implicit-def: $vgpr6_vgpr7
	s_mov_b32 s2, exec_lo
	s_waitcnt lgkmcnt(0)
	v_or_b32_e32 v5, s25, v9
	s_delay_alu instid0(VALU_DEP_1)
	v_cmpx_ne_u64_e32 0, v[4:5]
	s_xor_b32 s3, exec_lo, s2
	s_cbranch_execz .LBB0_4
; %bb.3:                                ;   in Loop: Header=BB0_2 Depth=1
	v_cvt_f32_u32_e32 v1, s24
	v_cvt_f32_u32_e32 v5, s25
	s_sub_u32 s2, 0, s24
	s_subb_u32 s26, 0, s25
	s_delay_alu instid0(VALU_DEP_1) | instskip(NEXT) | instid1(VALU_DEP_1)
	v_fmac_f32_e32 v1, 0x4f800000, v5
	v_rcp_f32_e32 v1, v1
	s_waitcnt_depctr 0xfff
	v_mul_f32_e32 v1, 0x5f7ffffc, v1
	s_delay_alu instid0(VALU_DEP_1) | instskip(NEXT) | instid1(VALU_DEP_1)
	v_mul_f32_e32 v5, 0x2f800000, v1
	v_trunc_f32_e32 v5, v5
	s_delay_alu instid0(VALU_DEP_1) | instskip(SKIP_1) | instid1(VALU_DEP_2)
	v_fmac_f32_e32 v1, 0xcf800000, v5
	v_cvt_u32_f32_e32 v5, v5
	v_cvt_u32_f32_e32 v1, v1
	s_delay_alu instid0(VALU_DEP_2) | instskip(NEXT) | instid1(VALU_DEP_2)
	v_mul_lo_u32 v6, s2, v5
	v_mul_hi_u32 v7, s2, v1
	v_mul_lo_u32 v10, s26, v1
	s_delay_alu instid0(VALU_DEP_2) | instskip(SKIP_1) | instid1(VALU_DEP_2)
	v_add_nc_u32_e32 v6, v7, v6
	v_mul_lo_u32 v7, s2, v1
	v_add_nc_u32_e32 v6, v6, v10
	s_delay_alu instid0(VALU_DEP_2) | instskip(NEXT) | instid1(VALU_DEP_2)
	v_mul_hi_u32 v10, v1, v7
	v_mul_lo_u32 v11, v1, v6
	v_mul_hi_u32 v12, v1, v6
	v_mul_hi_u32 v13, v5, v7
	v_mul_lo_u32 v7, v5, v7
	v_mul_hi_u32 v16, v5, v6
	v_mul_lo_u32 v6, v5, v6
	v_add_co_u32 v10, vcc_lo, v10, v11
	v_add_co_ci_u32_e32 v11, vcc_lo, 0, v12, vcc_lo
	s_delay_alu instid0(VALU_DEP_2) | instskip(NEXT) | instid1(VALU_DEP_2)
	v_add_co_u32 v7, vcc_lo, v10, v7
	v_add_co_ci_u32_e32 v7, vcc_lo, v11, v13, vcc_lo
	v_add_co_ci_u32_e32 v10, vcc_lo, 0, v16, vcc_lo
	s_delay_alu instid0(VALU_DEP_2) | instskip(NEXT) | instid1(VALU_DEP_2)
	v_add_co_u32 v6, vcc_lo, v7, v6
	v_add_co_ci_u32_e32 v7, vcc_lo, 0, v10, vcc_lo
	s_delay_alu instid0(VALU_DEP_2) | instskip(NEXT) | instid1(VALU_DEP_2)
	v_add_co_u32 v1, vcc_lo, v1, v6
	v_add_co_ci_u32_e32 v5, vcc_lo, v5, v7, vcc_lo
	s_delay_alu instid0(VALU_DEP_2) | instskip(SKIP_1) | instid1(VALU_DEP_3)
	v_mul_hi_u32 v6, s2, v1
	v_mul_lo_u32 v10, s26, v1
	v_mul_lo_u32 v7, s2, v5
	s_delay_alu instid0(VALU_DEP_1) | instskip(SKIP_1) | instid1(VALU_DEP_2)
	v_add_nc_u32_e32 v6, v6, v7
	v_mul_lo_u32 v7, s2, v1
	v_add_nc_u32_e32 v6, v6, v10
	s_delay_alu instid0(VALU_DEP_2) | instskip(NEXT) | instid1(VALU_DEP_2)
	v_mul_hi_u32 v10, v1, v7
	v_mul_lo_u32 v11, v1, v6
	v_mul_hi_u32 v12, v1, v6
	v_mul_hi_u32 v13, v5, v7
	v_mul_lo_u32 v7, v5, v7
	v_mul_hi_u32 v16, v5, v6
	v_mul_lo_u32 v6, v5, v6
	v_add_co_u32 v10, vcc_lo, v10, v11
	v_add_co_ci_u32_e32 v11, vcc_lo, 0, v12, vcc_lo
	s_delay_alu instid0(VALU_DEP_2) | instskip(NEXT) | instid1(VALU_DEP_2)
	v_add_co_u32 v7, vcc_lo, v10, v7
	v_add_co_ci_u32_e32 v7, vcc_lo, v11, v13, vcc_lo
	v_add_co_ci_u32_e32 v10, vcc_lo, 0, v16, vcc_lo
	s_delay_alu instid0(VALU_DEP_2) | instskip(NEXT) | instid1(VALU_DEP_2)
	v_add_co_u32 v6, vcc_lo, v7, v6
	v_add_co_ci_u32_e32 v7, vcc_lo, 0, v10, vcc_lo
	s_delay_alu instid0(VALU_DEP_2) | instskip(NEXT) | instid1(VALU_DEP_2)
	v_add_co_u32 v1, vcc_lo, v1, v6
	v_add_co_ci_u32_e32 v7, vcc_lo, v5, v7, vcc_lo
	s_delay_alu instid0(VALU_DEP_2) | instskip(SKIP_1) | instid1(VALU_DEP_3)
	v_mul_hi_u32 v16, v8, v1
	v_mad_u64_u32 v[10:11], null, v9, v1, 0
	v_mad_u64_u32 v[5:6], null, v8, v7, 0
	;; [unrolled: 1-line block ×3, first 2 shown]
	s_delay_alu instid0(VALU_DEP_2) | instskip(NEXT) | instid1(VALU_DEP_3)
	v_add_co_u32 v1, vcc_lo, v16, v5
	v_add_co_ci_u32_e32 v5, vcc_lo, 0, v6, vcc_lo
	s_delay_alu instid0(VALU_DEP_2) | instskip(NEXT) | instid1(VALU_DEP_2)
	v_add_co_u32 v1, vcc_lo, v1, v10
	v_add_co_ci_u32_e32 v1, vcc_lo, v5, v11, vcc_lo
	v_add_co_ci_u32_e32 v5, vcc_lo, 0, v13, vcc_lo
	s_delay_alu instid0(VALU_DEP_2) | instskip(NEXT) | instid1(VALU_DEP_2)
	v_add_co_u32 v1, vcc_lo, v1, v12
	v_add_co_ci_u32_e32 v7, vcc_lo, 0, v5, vcc_lo
	s_delay_alu instid0(VALU_DEP_2) | instskip(SKIP_1) | instid1(VALU_DEP_3)
	v_mul_lo_u32 v10, s25, v1
	v_mad_u64_u32 v[5:6], null, s24, v1, 0
	v_mul_lo_u32 v11, s24, v7
	s_delay_alu instid0(VALU_DEP_2) | instskip(NEXT) | instid1(VALU_DEP_2)
	v_sub_co_u32 v5, vcc_lo, v8, v5
	v_add3_u32 v6, v6, v11, v10
	s_delay_alu instid0(VALU_DEP_1) | instskip(NEXT) | instid1(VALU_DEP_1)
	v_sub_nc_u32_e32 v10, v9, v6
	v_subrev_co_ci_u32_e64 v10, s2, s25, v10, vcc_lo
	v_add_co_u32 v11, s2, v1, 2
	s_delay_alu instid0(VALU_DEP_1) | instskip(SKIP_3) | instid1(VALU_DEP_3)
	v_add_co_ci_u32_e64 v12, s2, 0, v7, s2
	v_sub_co_u32 v13, s2, v5, s24
	v_sub_co_ci_u32_e32 v6, vcc_lo, v9, v6, vcc_lo
	v_subrev_co_ci_u32_e64 v10, s2, 0, v10, s2
	v_cmp_le_u32_e32 vcc_lo, s24, v13
	s_delay_alu instid0(VALU_DEP_3) | instskip(SKIP_1) | instid1(VALU_DEP_4)
	v_cmp_eq_u32_e64 s2, s25, v6
	v_cndmask_b32_e64 v13, 0, -1, vcc_lo
	v_cmp_le_u32_e32 vcc_lo, s25, v10
	v_cndmask_b32_e64 v16, 0, -1, vcc_lo
	v_cmp_le_u32_e32 vcc_lo, s24, v5
	;; [unrolled: 2-line block ×3, first 2 shown]
	v_cndmask_b32_e64 v17, 0, -1, vcc_lo
	v_cmp_eq_u32_e32 vcc_lo, s25, v10
	s_delay_alu instid0(VALU_DEP_2) | instskip(SKIP_3) | instid1(VALU_DEP_3)
	v_cndmask_b32_e64 v5, v17, v5, s2
	v_cndmask_b32_e32 v10, v16, v13, vcc_lo
	v_add_co_u32 v13, vcc_lo, v1, 1
	v_add_co_ci_u32_e32 v16, vcc_lo, 0, v7, vcc_lo
	v_cmp_ne_u32_e32 vcc_lo, 0, v10
	s_delay_alu instid0(VALU_DEP_2) | instskip(NEXT) | instid1(VALU_DEP_4)
	v_cndmask_b32_e32 v6, v16, v12, vcc_lo
	v_cndmask_b32_e32 v10, v13, v11, vcc_lo
	v_cmp_ne_u32_e32 vcc_lo, 0, v5
	s_delay_alu instid0(VALU_DEP_3) | instskip(NEXT) | instid1(VALU_DEP_3)
	v_cndmask_b32_e32 v7, v7, v6, vcc_lo
	v_cndmask_b32_e32 v6, v1, v10, vcc_lo
.LBB0_4:                                ;   in Loop: Header=BB0_2 Depth=1
	s_and_not1_saveexec_b32 s2, s3
	s_cbranch_execz .LBB0_6
; %bb.5:                                ;   in Loop: Header=BB0_2 Depth=1
	v_cvt_f32_u32_e32 v1, s24
	s_sub_i32 s3, 0, s24
	s_delay_alu instid0(VALU_DEP_1) | instskip(SKIP_2) | instid1(VALU_DEP_1)
	v_rcp_iflag_f32_e32 v1, v1
	s_waitcnt_depctr 0xfff
	v_mul_f32_e32 v1, 0x4f7ffffe, v1
	v_cvt_u32_f32_e32 v1, v1
	s_delay_alu instid0(VALU_DEP_1) | instskip(NEXT) | instid1(VALU_DEP_1)
	v_mul_lo_u32 v5, s3, v1
	v_mul_hi_u32 v5, v1, v5
	s_delay_alu instid0(VALU_DEP_1) | instskip(NEXT) | instid1(VALU_DEP_1)
	v_add_nc_u32_e32 v1, v1, v5
	v_mul_hi_u32 v1, v8, v1
	s_delay_alu instid0(VALU_DEP_1) | instskip(NEXT) | instid1(VALU_DEP_1)
	v_mul_lo_u32 v5, v1, s24
	v_sub_nc_u32_e32 v5, v8, v5
	s_delay_alu instid0(VALU_DEP_1) | instskip(SKIP_1) | instid1(VALU_DEP_2)
	v_subrev_nc_u32_e32 v7, s24, v5
	v_cmp_le_u32_e32 vcc_lo, s24, v5
	v_dual_cndmask_b32 v5, v5, v7 :: v_dual_add_nc_u32 v6, 1, v1
	s_delay_alu instid0(VALU_DEP_1) | instskip(SKIP_1) | instid1(VALU_DEP_3)
	v_cndmask_b32_e32 v1, v1, v6, vcc_lo
	v_mov_b32_e32 v7, v4
	v_cmp_le_u32_e32 vcc_lo, s24, v5
	s_delay_alu instid0(VALU_DEP_3) | instskip(NEXT) | instid1(VALU_DEP_1)
	v_add_nc_u32_e32 v6, 1, v1
	v_cndmask_b32_e32 v6, v1, v6, vcc_lo
.LBB0_6:                                ;   in Loop: Header=BB0_2 Depth=1
	s_or_b32 exec_lo, exec_lo, s2
	v_mul_lo_u32 v1, v7, s24
	s_delay_alu instid0(VALU_DEP_2)
	v_mul_lo_u32 v5, v6, s25
	s_load_b64 s[2:3], s[14:15], 0x0
	v_mad_u64_u32 v[10:11], null, v6, s24, 0
	s_load_b64 s[24:25], s[12:13], 0x0
	s_add_u32 s22, s22, 1
	s_addc_u32 s23, s23, 0
	s_add_u32 s12, s12, 8
	s_addc_u32 s13, s13, 0
	s_add_u32 s14, s14, 8
	s_delay_alu instid0(VALU_DEP_1) | instskip(SKIP_3) | instid1(VALU_DEP_2)
	v_add3_u32 v1, v11, v5, v1
	v_sub_co_u32 v5, vcc_lo, v8, v10
	s_addc_u32 s15, s15, 0
	s_add_u32 s20, s20, 8
	v_sub_co_ci_u32_e32 v1, vcc_lo, v9, v1, vcc_lo
	s_addc_u32 s21, s21, 0
	s_waitcnt lgkmcnt(0)
	s_delay_alu instid0(VALU_DEP_1)
	v_mul_lo_u32 v12, s2, v1
	v_mul_lo_u32 v13, s3, v5
	v_mad_u64_u32 v[8:9], null, s2, v5, v[14:15]
	v_mul_lo_u32 v1, s24, v1
	v_mul_lo_u32 v16, s25, v5
	v_mad_u64_u32 v[10:11], null, s24, v5, v[2:3]
	v_cmp_ge_u64_e64 s2, s[22:23], s[10:11]
	v_add3_u32 v15, v13, v9, v12
	v_mov_b32_e32 v14, v8
	s_delay_alu instid0(VALU_DEP_4)
	v_add3_u32 v3, v16, v11, v1
	v_mov_b32_e32 v2, v10
	s_and_b32 vcc_lo, exec_lo, s2
	s_cbranch_vccnz .LBB0_9
; %bb.7:                                ;   in Loop: Header=BB0_2 Depth=1
	v_dual_mov_b32 v9, v7 :: v_dual_mov_b32 v8, v6
	s_branch .LBB0_2
.LBB0_8:
	v_dual_mov_b32 v2, v14 :: v_dual_mov_b32 v3, v15
	v_dual_mov_b32 v6, v8 :: v_dual_mov_b32 v7, v9
.LBB0_9:
	s_load_b64 s[0:1], s[0:1], 0x28
	s_lshl_b64 s[10:11], s[10:11], 3
	v_or_b32_e32 v4, 0x100, v0
	v_or_b32_e32 v13, 0x200, v0
	;; [unrolled: 1-line block ×15, first 2 shown]
	s_add_u32 s2, s18, s10
	s_addc_u32 s3, s19, s11
	s_waitcnt lgkmcnt(0)
	v_cmp_gt_u64_e32 vcc_lo, s[0:1], v[6:7]
	v_cmp_le_u64_e64 s0, s[0:1], v[6:7]
	s_delay_alu instid0(VALU_DEP_1) | instskip(NEXT) | instid1(SALU_CYCLE_1)
	s_and_saveexec_b32 s1, s0
	s_xor_b32 s0, exec_lo, s1
	s_cbranch_execz .LBB0_11
; %bb.10:
	v_or_b32_e32 v4, 0x100, v0
	v_or_b32_e32 v13, 0x200, v0
	;; [unrolled: 1-line block ×15, first 2 shown]
                                        ; implicit-def: $vgpr14_vgpr15
.LBB0_11:
	s_and_not1_saveexec_b32 s1, s0
	s_cbranch_execz .LBB0_13
; %bb.12:
	s_add_u32 s10, s16, s10
	s_addc_u32 s11, s17, s11
	v_lshlrev_b64 v[14:15], 2, v[14:15]
	s_load_b64 s[10:11], s[10:11], 0x0
	v_lshlrev_b32_e32 v34, 2, v0
	v_lshlrev_b32_e32 v35, 2, v12
	;; [unrolled: 1-line block ×9, first 2 shown]
	s_waitcnt lgkmcnt(0)
	v_mul_lo_u32 v24, s11, v6
	v_mul_lo_u32 v25, s10, v7
	v_mad_u64_u32 v[22:23], null, s10, v6, 0
	s_delay_alu instid0(VALU_DEP_1) | instskip(SKIP_1) | instid1(VALU_DEP_2)
	v_add3_u32 v23, v23, v25, v24
	v_lshlrev_b32_e32 v24, 2, v11
	v_lshlrev_b64 v[22:23], 2, v[22:23]
	s_delay_alu instid0(VALU_DEP_1) | instskip(NEXT) | instid1(VALU_DEP_1)
	v_add_co_u32 v22, s0, s4, v22
	v_add_co_ci_u32_e64 v23, s0, s5, v23, s0
	s_delay_alu instid0(VALU_DEP_2) | instskip(NEXT) | instid1(VALU_DEP_1)
	v_add_co_u32 v33, s0, v22, v14
	v_add_co_ci_u32_e64 v37, s0, v23, v15, s0
	s_delay_alu instid0(VALU_DEP_2) | instskip(NEXT) | instid1(VALU_DEP_1)
	v_add_co_u32 v14, s0, v33, v34
	v_add_co_ci_u32_e64 v15, s0, 0, v37, s0
	v_add_co_u32 v22, s0, v33, v35
	s_delay_alu instid0(VALU_DEP_1) | instskip(SKIP_1) | instid1(VALU_DEP_1)
	v_add_co_ci_u32_e64 v23, s0, 0, v37, s0
	v_add_co_u32 v24, s0, v33, v24
	v_add_co_ci_u32_e64 v25, s0, 0, v37, s0
	v_add_co_u32 v26, s0, v33, v26
	s_delay_alu instid0(VALU_DEP_1) | instskip(SKIP_1) | instid1(VALU_DEP_1)
	v_add_co_ci_u32_e64 v27, s0, 0, v37, s0
	v_add_co_u32 v28, s0, v33, v28
	v_add_co_ci_u32_e64 v29, s0, 0, v37, s0
	v_add_co_u32 v30, s0, v33, v30
	s_delay_alu instid0(VALU_DEP_1)
	v_add_co_ci_u32_e64 v31, s0, 0, v37, s0
	s_clause 0x5
	global_load_b32 v39, v[14:15], off
	global_load_b32 v40, v[14:15], off offset:1024
	global_load_b32 v41, v[14:15], off offset:2048
	global_load_b32 v42, v[24:25], off
	global_load_b32 v43, v[26:27], off
	;; [unrolled: 1-line block ×3, first 2 shown]
	v_add_co_u32 v14, s0, v33, v32
	s_delay_alu instid0(VALU_DEP_1) | instskip(SKIP_1) | instid1(VALU_DEP_1)
	v_add_co_ci_u32_e64 v15, s0, 0, v37, s0
	v_add_co_u32 v24, s0, v33, v38
	v_add_co_ci_u32_e64 v25, s0, 0, v37, s0
	v_lshlrev_b32_e32 v38, 2, v18
	v_add_co_u32 v26, s0, v33, v36
	s_clause 0x2
	global_load_b32 v45, v[30:31], off
	global_load_b32 v46, v[14:15], off
	;; [unrolled: 1-line block ×3, first 2 shown]
	v_lshlrev_b32_e32 v24, 2, v17
	v_add_co_ci_u32_e64 v27, s0, 0, v37, s0
	v_add_co_u32 v14, s0, v33, v38
	v_lshlrev_b32_e32 v28, 2, v16
	v_add_co_ci_u32_e64 v15, s0, 0, v37, s0
	v_add_co_u32 v24, s0, v33, v24
	;; [unrolled: 3-line block ×3, first 2 shown]
	s_delay_alu instid0(VALU_DEP_1) | instskip(NEXT) | instid1(VALU_DEP_4)
	v_add_co_ci_u32_e64 v29, s0, 0, v37, s0
	v_add_co_u32 v30, s0, v33, v30
	s_delay_alu instid0(VALU_DEP_1) | instskip(SKIP_1) | instid1(VALU_DEP_1)
	v_add_co_ci_u32_e64 v31, s0, 0, v37, s0
	v_add_co_u32 v32, s0, v33, v48
	v_add_co_ci_u32_e64 v33, s0, 0, v37, s0
	s_clause 0x6
	global_load_b32 v24, v[24:25], off
	global_load_b32 v25, v[28:29], off
	;; [unrolled: 1-line block ×7, first 2 shown]
	v_add_nc_u32_e32 v26, 0, v34
	v_add_nc_u32_e32 v27, 0, v35
	v_add_nc_u32_e32 v29, 0, v36
	v_add_nc_u32_e32 v30, 0, v38
	v_add_nc_u32_e32 v31, 0, v48
	s_waitcnt vmcnt(14)
	ds_store_2addr_stride64_b32 v26, v39, v40 offset1:4
	s_waitcnt vmcnt(12)
	ds_store_2addr_stride64_b32 v26, v41, v42 offset0:8 offset1:16
	s_waitcnt vmcnt(10)
	ds_store_2addr_stride64_b32 v26, v43, v44 offset0:20 offset1:24
	;; [unrolled: 2-line block ×5, first 2 shown]
	s_waitcnt vmcnt(3)
	ds_store_b32 v27, v22
	s_waitcnt vmcnt(2)
	ds_store_b32 v29, v23
	;; [unrolled: 2-line block ×4, first 2 shown]
.LBB0_13:
	s_or_b32 exec_lo, exec_lo, s1
	v_lshlrev_b32_e32 v14, 2, v0
	s_load_b64 s[2:3], s[2:3], 0x0
	s_waitcnt lgkmcnt(0)
	s_barrier
	buffer_gl0_inv
	v_add_nc_u32_e32 v15, 0, v14
	v_lshl_add_u32 v5, v5, 2, 0
	v_lshl_add_u32 v1, v1, 2, 0
	s_add_u32 s1, s8, 0x3fc0
	s_addc_u32 s4, s9, 0
	ds_load_2addr_stride64_b32 v[22:23], v15 offset1:4
	ds_load_2addr_stride64_b32 v[24:25], v15 offset0:8 offset1:12
	ds_load_2addr_stride64_b32 v[26:27], v15 offset0:16 offset1:20
	;; [unrolled: 1-line block ×7, first 2 shown]
	v_mad_u32_u24 v38, v0, 60, v15
	s_waitcnt lgkmcnt(0)
	s_barrier
	buffer_gl0_inv
	s_mov_b32 s5, exec_lo
	v_pk_add_f16 v30, v22, v30 neg_lo:[0,1] neg_hi:[0,1]
	v_pk_add_f16 v31, v23, v31 neg_lo:[0,1] neg_hi:[0,1]
	;; [unrolled: 1-line block ×8, first 2 shown]
	v_lshrrev_b32_e32 v40, 16, v30
	v_lshrrev_b32_e32 v42, 16, v34
	;; [unrolled: 1-line block ×4, first 2 shown]
	v_pk_fma_f16 v26, v26, 2.0, v32 op_sel_hi:[1,0,1] neg_lo:[0,0,1] neg_hi:[0,0,1]
	v_pk_fma_f16 v28, v28, 2.0, v36 op_sel_hi:[1,0,1] neg_lo:[0,0,1] neg_hi:[0,0,1]
	;; [unrolled: 1-line block ×4, first 2 shown]
	v_lshrrev_b32_e32 v39, 16, v32
	v_lshrrev_b32_e32 v41, 16, v36
	v_add_f16_e32 v32, v40, v32
	v_add_f16_e32 v36, v42, v36
	v_lshrrev_b32_e32 v43, 16, v33
	v_lshrrev_b32_e32 v45, 16, v37
	v_add_f16_e32 v33, v44, v33
	v_add_f16_e32 v37, v46, v37
	v_pk_fma_f16 v22, v22, 2.0, v30 op_sel_hi:[1,0,1] neg_lo:[0,0,1] neg_hi:[0,0,1]
	v_pk_fma_f16 v23, v23, 2.0, v31 op_sel_hi:[1,0,1] neg_lo:[0,0,1] neg_hi:[0,0,1]
	v_sub_f16_e32 v39, v30, v39
	v_sub_f16_e32 v41, v34, v41
	v_fma_f16 v40, v40, 2.0, -v32
	v_fma_f16 v42, v42, 2.0, -v36
	v_sub_f16_e32 v43, v31, v43
	v_sub_f16_e32 v45, v35, v45
	v_fma_f16 v44, v44, 2.0, -v33
	v_fma_f16 v46, v46, 2.0, -v37
	v_fmamk_f16 v50, v36, 0x39a8, v32
	v_pk_fma_f16 v24, v24, 2.0, v34 op_sel_hi:[1,0,1] neg_lo:[0,0,1] neg_hi:[0,0,1]
	v_pk_fma_f16 v25, v25, 2.0, v35 op_sel_hi:[1,0,1] neg_lo:[0,0,1] neg_hi:[0,0,1]
	v_pk_add_f16 v26, v22, v26 neg_lo:[0,1] neg_hi:[0,1]
	v_pk_add_f16 v27, v23, v27 neg_lo:[0,1] neg_hi:[0,1]
	v_fma_f16 v30, v30, 2.0, -v39
	v_fma_f16 v34, v34, 2.0, -v41
	v_fma_f16 v31, v31, 2.0, -v43
	v_fma_f16 v35, v35, 2.0, -v45
	v_fmamk_f16 v48, v42, 0xb9a8, v40
	v_fmamk_f16 v49, v41, 0x39a8, v39
	v_fmac_f16_e32 v50, 0x39a8, v41
	v_fmamk_f16 v41, v46, 0xb9a8, v44
	v_pk_add_f16 v28, v24, v28 neg_lo:[0,1] neg_hi:[0,1]
	v_pk_add_f16 v29, v25, v29 neg_lo:[0,1] neg_hi:[0,1]
	v_fmamk_f16 v47, v34, 0xb9a8, v30
	v_fmac_f16_e32 v48, 0x39a8, v34
	v_lshrrev_b32_e32 v34, 16, v26
	v_fmac_f16_e32 v49, 0xb9a8, v36
	v_fmamk_f16 v36, v35, 0xb9a8, v31
	v_lshrrev_b32_e32 v51, 16, v27
	v_fmac_f16_e32 v41, 0x39a8, v35
	v_fmamk_f16 v35, v45, 0x39a8, v43
	v_pk_fma_f16 v24, v24, 2.0, v28 op_sel_hi:[1,0,1] neg_lo:[0,0,1] neg_hi:[0,0,1]
	v_pk_fma_f16 v25, v25, 2.0, v29 op_sel_hi:[1,0,1] neg_lo:[0,0,1] neg_hi:[0,0,1]
	v_fmac_f16_e32 v47, 0xb9a8, v42
	v_lshrrev_b32_e32 v42, 16, v28
	v_add_f16_e32 v28, v34, v28
	v_fma_f16 v40, v40, 2.0, -v48
	v_fmac_f16_e32 v36, 0xb9a8, v46
	v_lshrrev_b32_e32 v46, 16, v29
	v_add_f16_e32 v29, v51, v29
	v_fmamk_f16 v52, v37, 0x39a8, v33
	v_fmac_f16_e32 v35, 0xb9a8, v37
	v_fma_f16 v37, v44, 2.0, -v41
	v_fma_f16 v30, v30, 2.0, -v47
	v_sub_f16_e32 v42, v26, v42
	v_fma_f16 v34, v34, 2.0, -v28
	v_fma_f16 v31, v31, 2.0, -v36
	v_sub_f16_e32 v46, v27, v46
	v_fma_f16 v44, v51, 2.0, -v29
	v_fmac_f16_e32 v52, 0x39a8, v45
	v_fmamk_f16 v51, v37, 0xbb64, v40
	v_pk_fma_f16 v22, v22, 2.0, v26 op_sel_hi:[1,0,1] neg_lo:[0,0,1] neg_hi:[0,0,1]
	v_pk_fma_f16 v23, v23, 2.0, v27 op_sel_hi:[1,0,1] neg_lo:[0,0,1] neg_hi:[0,0,1]
	v_fma_f16 v26, v26, 2.0, -v42
	v_fma_f16 v32, v32, 2.0, -v50
	v_fma_f16 v27, v27, 2.0, -v46
	v_fmamk_f16 v45, v31, 0xbb64, v30
	v_fma_f16 v33, v33, 2.0, -v52
	v_fmac_f16_e32 v51, 0x361f, v31
	v_fmamk_f16 v31, v44, 0xb9a8, v34
	v_fma_f16 v39, v39, 2.0, -v49
	v_fma_f16 v43, v43, 2.0, -v35
	v_fmamk_f16 v53, v27, 0xb9a8, v26
	v_fmac_f16_e32 v45, 0xb61f, v37
	v_fmac_f16_e32 v31, 0x39a8, v27
	v_fmamk_f16 v27, v33, 0xb61f, v32
	v_fmamk_f16 v37, v43, 0xb61f, v39
	;; [unrolled: 1-line block ×3, first 2 shown]
	v_pk_add_f16 v24, v22, v24 neg_lo:[0,1] neg_hi:[0,1]
	v_pk_add_f16 v25, v23, v25 neg_lo:[0,1] neg_hi:[0,1]
	v_fmac_f16_e32 v27, 0x3b64, v43
	v_fmamk_f16 v43, v36, 0x361f, v47
	v_fmac_f16_e32 v54, 0x3b64, v36
	v_fmamk_f16 v36, v46, 0x39a8, v42
	v_fmac_f16_e32 v53, 0xb9a8, v44
	v_fmac_f16_e32 v37, 0xbb64, v33
	;; [unrolled: 1-line block ×3, first 2 shown]
	v_fmamk_f16 v41, v29, 0x39a8, v28
	v_lshrrev_b32_e32 v33, 16, v25
	v_lshrrev_b32_e32 v44, 16, v24
	v_fmamk_f16 v55, v35, 0x3b64, v49
	v_fmamk_f16 v56, v52, 0x3b64, v50
	v_pk_fma_f16 v22, v22, 2.0, v24 op_sel_hi:[1,0,1] neg_lo:[0,0,1] neg_hi:[0,0,1]
	v_pk_fma_f16 v23, v23, 2.0, v25 op_sel_hi:[1,0,1] neg_lo:[0,0,1] neg_hi:[0,0,1]
	v_fmac_f16_e32 v36, 0xb9a8, v29
	v_fmac_f16_e32 v41, 0x39a8, v46
	v_sub_f16_e32 v33, v24, v33
	v_add_f16_e32 v25, v44, v25
	v_fmac_f16_e32 v55, 0xb61f, v52
	v_fmac_f16_e32 v56, 0x361f, v35
	v_pk_add_f16 v23, v22, v23 neg_lo:[0,1] neg_hi:[0,1]
	v_fma_f16 v30, v30, 2.0, -v45
	v_fma_f16 v40, v40, 2.0, -v51
	;; [unrolled: 1-line block ×14, first 2 shown]
	v_pk_fma_f16 v22, v22, 2.0, v23 op_sel_hi:[1,0,1] neg_lo:[0,0,1] neg_hi:[0,0,1]
	v_pack_b32_f16 v30, v30, v40
	v_pack_b32_f16 v28, v35, v28
	v_and_b32_e32 v35, 15, v0
	v_pack_b32_f16 v32, v39, v32
	v_pack_b32_f16 v26, v26, v34
	;; [unrolled: 1-line block ×5, first 2 shown]
	ds_store_2addr_b32 v38, v22, v30 offset1:1
	ds_store_2addr_b32 v38, v26, v32 offset0:2 offset1:3
	ds_store_2addr_b32 v38, v24, v29 offset0:4 offset1:5
	;; [unrolled: 1-line block ×3, first 2 shown]
	v_pack_b32_f16 v24, v37, v27
	v_mul_u32_u24_e32 v27, 15, v35
	v_pack_b32_f16 v22, v45, v51
	v_pack_b32_f16 v26, v53, v31
	;; [unrolled: 1-line block ×4, first 2 shown]
	v_lshlrev_b32_e32 v34, 2, v27
	v_pack_b32_f16 v29, v55, v56
	v_pack_b32_f16 v30, v36, v41
	ds_store_2addr_b32 v38, v23, v22 offset0:8 offset1:9
	ds_store_2addr_b32 v38, v26, v24 offset0:10 offset1:11
	;; [unrolled: 1-line block ×4, first 2 shown]
	s_waitcnt lgkmcnt(0)
	s_barrier
	buffer_gl0_inv
	s_clause 0x3
	global_load_b128 v[22:25], v34, s[8:9]
	global_load_b128 v[26:29], v34, s[8:9] offset:16
	global_load_b128 v[30:33], v34, s[8:9] offset:32
	global_load_b96 v[34:36], v34, s[8:9] offset:48
	v_lshl_or_b32 v49, v0, 4, v0
	ds_load_2addr_stride64_b32 v[37:38], v15 offset0:16 offset1:20
	ds_load_2addr_stride64_b32 v[39:40], v15 offset0:24 offset1:28
	;; [unrolled: 1-line block ×6, first 2 shown]
	v_mul_u32_u24_e32 v53, 15, v0
	v_and_b32_e32 v54, 0xf0f, v49
	ds_load_2addr_stride64_b32 v[49:50], v15 offset1:4
	ds_load_2addr_stride64_b32 v[51:52], v15 offset0:8 offset1:12
	s_waitcnt vmcnt(0) lgkmcnt(0)
	s_barrier
	v_lshlrev_b32_e32 v53, 2, v53
	v_lshl_add_u32 v54, v54, 2, 0
	buffer_gl0_inv
	v_lshrrev_b32_e32 v55, 16, v38
	v_lshrrev_b32_e32 v69, 16, v37
	;; [unrolled: 1-line block ×21, first 2 shown]
	v_mul_f16_e32 v87, v71, v50
	v_mul_f16_e32 v85, v72, v67
	;; [unrolled: 1-line block ×3, first 2 shown]
	v_lshrrev_b32_e32 v76, 16, v27
	v_lshrrev_b32_e32 v77, 16, v28
	;; [unrolled: 1-line block ×9, first 2 shown]
	v_mul_f16_e32 v72, v72, v51
	v_mul_f16_e32 v73, v73, v52
	v_fma_f16 v51, v23, v51, -v85
	v_fma_f16 v52, v24, v52, -v86
	v_lshrrev_b32_e32 v85, 16, v36
	v_mul_f16_e32 v71, v71, v66
	v_mul_f16_e32 v86, v74, v69
	;; [unrolled: 1-line block ×3, first 2 shown]
	v_fmac_f16_e32 v87, v22, v66
	v_mul_f16_e32 v66, v55, v75
	v_mul_f16_e32 v75, v38, v75
	v_fmac_f16_e32 v72, v23, v67
	v_mul_f16_e32 v23, v56, v76
	v_mul_f16_e32 v67, v39, v76
	;; [unrolled: 3-line block ×4, first 2 shown]
	v_fma_f16 v22, v22, v50, -v71
	v_fma_f16 v25, v25, v37, -v86
	v_mul_f16_e32 v37, v59, v79
	v_mul_f16_e32 v50, v42, v79
	;; [unrolled: 1-line block ×8, first 2 shown]
	v_fma_f16 v38, v38, v26, -v66
	v_mul_f16_e32 v66, v63, v83
	v_mul_f16_e32 v82, v46, v83
	;; [unrolled: 1-line block ×4, first 2 shown]
	v_fmac_f16_e32 v75, v55, v26
	v_mul_f16_e32 v26, v65, v85
	v_mul_f16_e32 v55, v48, v85
	v_fma_f16 v23, v39, v27, -v23
	v_fmac_f16_e32 v67, v56, v27
	v_fma_f16 v24, v40, v28, -v24
	v_fmac_f16_e32 v68, v57, v28
	;; [unrolled: 2-line block ×10, first 2 shown]
	v_sub_f16_e32 v27, v49, v27
	v_sub_f16_e32 v34, v70, v76
	;; [unrolled: 1-line block ×16, first 2 shown]
	v_fma_f16 v43, v49, 2.0, -v27
	v_fma_f16 v44, v70, 2.0, -v34
	;; [unrolled: 1-line block ×15, first 2 shown]
	v_sub_f16_e32 v35, v27, v35
	v_add_f16_e32 v31, v34, v31
	v_sub_f16_e32 v37, v29, v37
	v_add_f16_e32 v33, v36, v33
	v_sub_f16_e32 v40, v28, v40
	v_add_f16_e32 v32, v39, v32
	v_sub_f16_e32 v42, v30, v42
	v_add_f16_e32 v26, v41, v26
	v_fma_f16 v22, v22, 2.0, -v28
	v_sub_f16_e32 v45, v44, v45
	v_fma_f16 v27, v27, 2.0, -v35
	v_fma_f16 v34, v34, 2.0, -v31
	v_sub_f16_e32 v23, v46, v23
	v_sub_f16_e32 v48, v47, v48
	v_fma_f16 v29, v29, 2.0, -v37
	v_fma_f16 v36, v36, 2.0, -v33
	v_sub_f16_e32 v50, v49, v50
	v_fma_f16 v28, v28, 2.0, -v40
	v_fma_f16 v39, v39, 2.0, -v32
	;; [unrolled: 3-line block ×3, first 2 shown]
	v_fmamk_f16 v56, v37, 0x39a8, v35
	v_fmamk_f16 v57, v33, 0x39a8, v31
	v_sub_f16_e32 v25, v43, v25
	v_sub_f16_e32 v38, v22, v38
	;; [unrolled: 1-line block ×3, first 2 shown]
	v_fmamk_f16 v58, v42, 0x39a8, v40
	v_fmamk_f16 v59, v26, 0x39a8, v32
	v_fma_f16 v44, v44, 2.0, -v45
	v_fma_f16 v46, v46, 2.0, -v23
	;; [unrolled: 1-line block ×5, first 2 shown]
	v_fmamk_f16 v60, v29, 0xb9a8, v27
	v_fmamk_f16 v61, v36, 0xb9a8, v34
	v_add_f16_e32 v23, v45, v23
	v_fmac_f16_e32 v56, 0xb9a8, v33
	v_fmac_f16_e32 v57, 0x39a8, v37
	v_fmamk_f16 v33, v30, 0xb9a8, v28
	v_fmamk_f16 v37, v41, 0xb9a8, v39
	v_fma_f16 v51, v51, 2.0, -v24
	v_sub_f16_e32 v48, v25, v48
	v_sub_f16_e32 v55, v38, v55
	v_add_f16_e32 v24, v50, v24
	v_fmac_f16_e32 v58, 0xb9a8, v26
	v_fmac_f16_e32 v59, 0x39a8, v42
	v_fma_f16 v43, v43, 2.0, -v25
	v_fma_f16 v22, v22, 2.0, -v38
	v_sub_f16_e32 v42, v44, v47
	v_fmac_f16_e32 v60, 0xb9a8, v36
	v_fmac_f16_e32 v61, 0x39a8, v29
	v_fma_f16 v29, v45, 2.0, -v23
	v_sub_f16_e32 v45, v49, v52
	v_fmac_f16_e32 v33, 0xb9a8, v41
	v_fmac_f16_e32 v37, 0x39a8, v30
	v_fma_f16 v25, v25, 2.0, -v48
	v_fma_f16 v35, v35, 2.0, -v56
	;; [unrolled: 1-line block ×7, first 2 shown]
	v_sub_f16_e32 v26, v43, v46
	v_sub_f16_e32 v36, v22, v51
	v_fmamk_f16 v41, v55, 0x39a8, v48
	v_fmamk_f16 v46, v24, 0x39a8, v23
	;; [unrolled: 1-line block ×4, first 2 shown]
	v_fma_f16 v44, v44, 2.0, -v42
	v_fma_f16 v27, v27, 2.0, -v60
	;; [unrolled: 1-line block ×6, first 2 shown]
	v_fmamk_f16 v51, v30, 0xb9a8, v25
	v_fmamk_f16 v52, v38, 0xb9a8, v29
	v_fmamk_f16 v62, v40, 0xb61f, v35
	v_fmamk_f16 v63, v32, 0xb61f, v31
	v_fmamk_f16 v64, v33, 0x361f, v60
	v_fmamk_f16 v65, v37, 0x361f, v61
	v_fma_f16 v22, v22, 2.0, -v36
	v_sub_f16_e32 v45, v26, v45
	v_add_f16_e32 v36, v42, v36
	v_fmac_f16_e32 v41, 0xb9a8, v24
	v_fmac_f16_e32 v46, 0x39a8, v55
	;; [unrolled: 1-line block ×4, first 2 shown]
	v_fma_f16 v43, v43, 2.0, -v26
	v_sub_f16_e32 v24, v44, v49
	v_fmamk_f16 v49, v28, 0xbb64, v27
	v_fmamk_f16 v55, v39, 0xbb64, v34
	v_fmac_f16_e32 v51, 0xb9a8, v38
	v_fmac_f16_e32 v52, 0x39a8, v30
	;; [unrolled: 1-line block ×6, first 2 shown]
	v_fma_f16 v26, v26, 2.0, -v45
	v_fma_f16 v30, v42, 2.0, -v36
	;; [unrolled: 1-line block ×6, first 2 shown]
	v_sub_f16_e32 v22, v43, v22
	v_fmac_f16_e32 v49, 0xb61f, v39
	v_fmac_f16_e32 v55, 0x361f, v28
	v_fma_f16 v25, v25, 2.0, -v51
	v_fma_f16 v28, v29, 2.0, -v52
	;; [unrolled: 1-line block ×6, first 2 shown]
	v_pack_b32_f16 v26, v26, v30
	v_pack_b32_f16 v23, v32, v23
	v_pack_b32_f16 v30, v33, v37
	v_pack_b32_f16 v38, v41, v46
	v_fma_f16 v41, v43, 2.0, -v22
	v_fma_f16 v42, v44, 2.0, -v24
	v_pack_b32_f16 v22, v22, v24
	v_pack_b32_f16 v24, v51, v52
	;; [unrolled: 1-line block ×3, first 2 shown]
	v_fma_f16 v27, v27, 2.0, -v49
	v_fma_f16 v34, v34, 2.0, -v55
	v_pack_b32_f16 v36, v45, v36
	v_pack_b32_f16 v40, v47, v50
	;; [unrolled: 1-line block ×6, first 2 shown]
	ds_store_2addr_b32 v54, v23, v30 offset0:96 offset1:112
	v_pack_b32_f16 v23, v49, v55
	v_pack_b32_f16 v37, v41, v42
	ds_store_2addr_b32 v54, v24, v32 offset0:160 offset1:176
	v_pack_b32_f16 v24, v27, v34
	ds_store_2addr_b32 v54, v38, v40 offset0:224 offset1:240
	ds_store_2addr_b32 v54, v36, v33 offset0:192 offset1:208
	;; [unrolled: 1-line block ×5, first 2 shown]
	ds_store_2addr_b32 v54, v37, v24 offset1:16
	s_waitcnt lgkmcnt(0)
	s_barrier
	buffer_gl0_inv
	s_clause 0x3
	global_load_b128 v[29:32], v53, s[8:9] offset:960
	global_load_b128 v[33:36], v53, s[8:9] offset:976
	;; [unrolled: 1-line block ×3, first 2 shown]
	global_load_b96 v[41:43], v53, s[8:9] offset:1008
	ds_load_2addr_stride64_b32 v[44:45], v15 offset0:24 offset1:28
	v_lshl_add_u32 v54, v21, 2, 0
	ds_load_2addr_stride64_b32 v[46:47], v15 offset0:32 offset1:36
	v_lshl_add_u32 v55, v20, 2, 0
	;; [unrolled: 2-line block ×4, first 2 shown]
	ds_load_2addr_stride64_b32 v[18:19], v15 offset0:56 offset1:60
	ds_load_2addr_stride64_b32 v[50:51], v15 offset1:4
	ds_load_2addr_stride64_b32 v[52:53], v15 offset0:8 offset1:12
	v_lshl_add_u32 v58, v17, 2, 0
	v_lshl_add_u32 v59, v16, 2, 0
	ds_load_2addr_stride64_b32 v[16:17], v15 offset0:16 offset1:20
	ds_load_u16 v60, v15 offset:5122
	v_lshl_add_u32 v28, v4, 2, 0
	v_lshl_add_u32 v27, v13, 2, 0
	;; [unrolled: 1-line block ×6, first 2 shown]
	s_waitcnt lgkmcnt(8)
	v_lshrrev_b32_e32 v61, 16, v44
	v_lshrrev_b32_e32 v62, 16, v45
	s_waitcnt lgkmcnt(7)
	v_lshrrev_b32_e32 v63, 16, v46
	v_lshrrev_b32_e32 v64, 16, v47
	;; [unrolled: 3-line block ×4, first 2 shown]
	s_waitcnt lgkmcnt(3)
	v_lshrrev_b32_e32 v71, 16, v51
	s_waitcnt lgkmcnt(2)
	v_lshrrev_b32_e32 v72, 16, v52
	v_lshrrev_b32_e32 v73, 16, v53
	;; [unrolled: 1-line block ×3, first 2 shown]
	s_waitcnt lgkmcnt(1)
	v_lshrrev_b32_e32 v74, 16, v16
	v_lshrrev_b32_e32 v70, 16, v19
	;; [unrolled: 1-line block ×3, first 2 shown]
	v_lshl_add_u32 v22, v8, 2, 0
	s_waitcnt vmcnt(0) lgkmcnt(0)
	s_barrier
	buffer_gl0_inv
	v_lshrrev_b32_e32 v76, 16, v29
	v_lshrrev_b32_e32 v77, 16, v30
	;; [unrolled: 1-line block ×5, first 2 shown]
	v_mul_f16_e32 v87, v76, v51
	v_mul_f16_e32 v85, v77, v72
	v_mul_f16_e32 v77, v77, v52
	v_lshrrev_b32_e32 v81, 16, v34
	v_lshrrev_b32_e32 v82, 16, v35
	v_mul_f16_e32 v86, v78, v73
	v_mul_f16_e32 v78, v78, v53
	;; [unrolled: 1-line block ×3, first 2 shown]
	v_fmac_f16_e32 v87, v29, v71
	v_mul_f16_e32 v71, v79, v16
	v_fmac_f16_e32 v77, v30, v72
	v_mul_f16_e32 v72, v79, v74
	v_lshrrev_b32_e32 v83, 16, v36
	v_lshrrev_b32_e32 v84, 16, v37
	v_fma_f16 v52, v30, v52, -v85
	v_fma_f16 v53, v31, v53, -v86
	v_lshrrev_b32_e32 v85, 16, v38
	v_lshrrev_b32_e32 v86, 16, v39
	;; [unrolled: 1-line block ×3, first 2 shown]
	v_fmac_f16_e32 v78, v31, v73
	v_lshrrev_b32_e32 v31, 16, v41
	v_fmac_f16_e32 v71, v32, v74
	v_lshrrev_b32_e32 v73, 16, v42
	v_fma_f16 v29, v29, v51, -v76
	v_fma_f16 v16, v32, v16, -v72
	v_lshrrev_b32_e32 v32, 16, v43
	v_mul_f16_e32 v51, v60, v80
	v_mul_f16_e32 v72, v80, v17
	;; [unrolled: 1-line block ×6, first 2 shown]
	v_fma_f16 v17, v33, v17, -v51
	v_mul_f16_e32 v51, v63, v83
	v_mul_f16_e32 v81, v46, v83
	;; [unrolled: 1-line block ×4, first 2 shown]
	v_fma_f16 v44, v44, v34, -v74
	v_fma_f16 v45, v45, v35, -v79
	v_mul_f16_e32 v74, v65, v85
	v_mul_f16_e32 v79, v20, v85
	;; [unrolled: 1-line block ×4, first 2 shown]
	v_fmac_f16_e32 v72, v60, v33
	v_mul_f16_e32 v33, v67, v30
	v_mul_f16_e32 v30, v48, v30
	v_fmac_f16_e32 v76, v61, v34
	v_mul_f16_e32 v34, v68, v31
	v_mul_f16_e32 v31, v49, v31
	;; [unrolled: 3-line block ×3, first 2 shown]
	v_mul_f16_e32 v61, v70, v32
	v_mul_f16_e32 v32, v19, v32
	v_fmac_f16_e32 v81, v63, v36
	v_fma_f16 v36, v46, v36, -v51
	v_fma_f16 v46, v47, v37, -v82
	v_fmac_f16_e32 v83, v64, v37
	v_fma_f16 v20, v20, v38, -v74
	v_fmac_f16_e32 v79, v65, v38
	v_fma_f16 v21, v21, v39, -v84
	v_fmac_f16_e32 v85, v66, v39
	v_fma_f16 v33, v48, v40, -v33
	v_fmac_f16_e32 v30, v67, v40
	v_fma_f16 v34, v49, v41, -v34
	v_fmac_f16_e32 v31, v68, v41
	v_fma_f16 v18, v18, v42, -v35
	v_fmac_f16_e32 v60, v69, v42
	v_fma_f16 v19, v19, v43, -v61
	v_fmac_f16_e32 v32, v70, v43
	v_sub_f16_e32 v35, v50, v36
	v_sub_f16_e32 v36, v75, v81
	;; [unrolled: 1-line block ×16, first 2 shown]
	v_fma_f16 v42, v50, 2.0, -v35
	v_fma_f16 v43, v75, 2.0, -v36
	;; [unrolled: 1-line block ×15, first 2 shown]
	v_sub_f16_e32 v30, v35, v30
	v_add_f16_e32 v33, v36, v33
	v_sub_f16_e32 v38, v20, v38
	v_add_f16_e32 v18, v37, v18
	;; [unrolled: 2-line block ×4, first 2 shown]
	v_fma_f16 v29, v29, 2.0, -v39
	v_sub_f16_e32 v46, v43, v46
	v_fma_f16 v35, v35, 2.0, -v30
	v_fma_f16 v36, v36, 2.0, -v33
	v_sub_f16_e32 v44, v47, v44
	v_sub_f16_e32 v49, v48, v49
	v_fma_f16 v20, v20, 2.0, -v38
	v_fma_f16 v37, v37, 2.0, -v18
	v_sub_f16_e32 v51, v50, v51
	v_fma_f16 v39, v39, 2.0, -v31
	v_fma_f16 v40, v40, 2.0, -v34
	;; [unrolled: 3-line block ×3, first 2 shown]
	v_fmamk_f16 v61, v38, 0x39a8, v30
	v_fmamk_f16 v62, v18, 0x39a8, v33
	v_sub_f16_e32 v16, v42, v16
	v_sub_f16_e32 v17, v29, v17
	v_sub_f16_e32 v45, v52, v45
	v_fmamk_f16 v63, v32, 0x39a8, v31
	v_fmamk_f16 v64, v19, 0x39a8, v34
	v_fma_f16 v43, v43, 2.0, -v46
	v_fma_f16 v47, v47, 2.0, -v44
	;; [unrolled: 1-line block ×5, first 2 shown]
	v_fmamk_f16 v65, v20, 0xb9a8, v35
	v_fmamk_f16 v66, v37, 0xb9a8, v36
	v_add_f16_e32 v44, v46, v44
	v_fmac_f16_e32 v61, 0xb9a8, v18
	v_fmac_f16_e32 v62, 0x39a8, v38
	v_fmamk_f16 v18, v21, 0xb9a8, v39
	v_fmamk_f16 v38, v41, 0xb9a8, v40
	v_fma_f16 v42, v42, 2.0, -v16
	v_fma_f16 v29, v29, 2.0, -v17
	;; [unrolled: 1-line block ×3, first 2 shown]
	v_sub_f16_e32 v49, v16, v49
	v_sub_f16_e32 v60, v17, v60
	v_add_f16_e32 v45, v51, v45
	v_fmac_f16_e32 v63, 0xb9a8, v19
	v_fmac_f16_e32 v64, 0x39a8, v32
	v_sub_f16_e32 v32, v43, v48
	v_fmac_f16_e32 v65, 0xb9a8, v37
	v_fmac_f16_e32 v66, 0x39a8, v20
	v_fma_f16 v20, v46, 2.0, -v44
	v_sub_f16_e32 v46, v50, v53
	v_fmac_f16_e32 v18, 0xb9a8, v41
	v_fmac_f16_e32 v38, 0x39a8, v21
	v_sub_f16_e32 v19, v42, v47
	v_sub_f16_e32 v37, v29, v52
	v_fma_f16 v16, v16, 2.0, -v49
	v_fma_f16 v33, v33, 2.0, -v62
	;; [unrolled: 1-line block ×5, first 2 shown]
	v_fmamk_f16 v41, v60, 0x39a8, v49
	v_fmamk_f16 v47, v45, 0x39a8, v44
	v_fmamk_f16 v48, v63, 0x3b64, v61
	v_fmamk_f16 v51, v64, 0x3b64, v62
	v_fma_f16 v43, v43, 2.0, -v32
	v_fma_f16 v35, v35, 2.0, -v65
	;; [unrolled: 1-line block ×10, first 2 shown]
	v_fmamk_f16 v52, v17, 0xb9a8, v16
	v_fmamk_f16 v53, v21, 0xb9a8, v20
	;; [unrolled: 1-line block ×3, first 2 shown]
	v_sub_f16_e32 v46, v19, v46
	v_add_f16_e32 v37, v32, v37
	v_fmac_f16_e32 v41, 0xb9a8, v45
	v_fmac_f16_e32 v47, 0x39a8, v60
	;; [unrolled: 1-line block ×4, first 2 shown]
	v_sub_f16_e32 v45, v43, v50
	v_fmamk_f16 v50, v39, 0xbb64, v35
	v_fmamk_f16 v60, v40, 0xbb64, v36
	;; [unrolled: 1-line block ×5, first 2 shown]
	v_sub_f16_e32 v29, v42, v29
	v_fmac_f16_e32 v52, 0xb9a8, v21
	v_fmac_f16_e32 v53, 0x39a8, v17
	;; [unrolled: 1-line block ×3, first 2 shown]
	v_fma_f16 v17, v19, 2.0, -v46
	v_fma_f16 v19, v32, 2.0, -v37
	;; [unrolled: 1-line block ×4, first 2 shown]
	v_fmac_f16_e32 v50, 0xb61f, v40
	v_fmac_f16_e32 v60, 0x361f, v39
	;; [unrolled: 1-line block ×5, first 2 shown]
	v_fma_f16 v18, v49, 2.0, -v41
	v_pack_b32_f16 v34, v46, v37
	v_pack_b32_f16 v37, v41, v47
	v_fma_f16 v41, v42, 2.0, -v29
	v_fma_f16 v42, v43, 2.0, -v45
	v_fma_f16 v16, v16, 2.0, -v52
	v_fma_f16 v20, v20, 2.0, -v53
	v_pack_b32_f16 v17, v17, v19
	v_pack_b32_f16 v19, v31, v32
	v_fma_f16 v31, v35, 2.0, -v50
	v_fma_f16 v32, v36, 2.0, -v60
	v_fma_f16 v30, v30, 2.0, -v67
	v_fma_f16 v33, v33, 2.0, -v68
	v_fma_f16 v21, v44, 2.0, -v47
	v_fma_f16 v39, v65, 2.0, -v69
	v_fma_f16 v40, v66, 2.0, -v70
	v_pack_b32_f16 v41, v41, v42
	v_pack_b32_f16 v16, v16, v20
	;; [unrolled: 1-line block ×12, first 2 shown]
	ds_store_b32 v15, v41
	ds_store_b32 v28, v20
	;; [unrolled: 1-line block ×16, first 2 shown]
	s_waitcnt lgkmcnt(0)
	s_barrier
	buffer_gl0_inv
	ds_load_b32 v5, v15
	v_sub_nc_u32_e32 v16, 0, v14
                                        ; implicit-def: $vgpr17
                                        ; implicit-def: $vgpr1
	s_waitcnt lgkmcnt(0)
	v_lshrrev_b32_e32 v14, 16, v5
	v_cmpx_ne_u32_e32 0, v0
	s_xor_b32 s5, exec_lo, s5
	s_cbranch_execz .LBB0_15
; %bb.14:
	v_mov_b32_e32 v1, 0
	s_delay_alu instid0(VALU_DEP_1) | instskip(SKIP_2) | instid1(VALU_DEP_1)
	v_lshlrev_b64 v[17:18], 2, v[0:1]
	ds_load_b32 v1, v16 offset:16384
	v_add_co_u32 v17, s0, s1, v17
	v_add_co_ci_u32_e64 v18, s0, s4, v18, s0
	global_load_b32 v17, v[17:18], off
	s_waitcnt lgkmcnt(0)
	v_lshrrev_b32_e32 v18, 16, v1
	v_sub_f16_e32 v19, v5, v1
	v_add_f16_e32 v5, v1, v5
	s_delay_alu instid0(VALU_DEP_3) | instskip(SKIP_1) | instid1(VALU_DEP_4)
	v_add_f16_e32 v20, v18, v14
	v_sub_f16_e32 v14, v14, v18
	v_mul_f16_e32 v18, 0.5, v19
	s_delay_alu instid0(VALU_DEP_3) | instskip(NEXT) | instid1(VALU_DEP_3)
	v_mul_f16_e32 v20, 0.5, v20
	v_mul_f16_e32 v14, 0.5, v14
	s_waitcnt vmcnt(0)
	v_lshrrev_b32_e32 v19, 16, v17
	s_delay_alu instid0(VALU_DEP_1) | instskip(NEXT) | instid1(VALU_DEP_3)
	v_mul_f16_e32 v21, v19, v18
	v_fma_f16 v29, v20, v19, v14
	v_fma_f16 v14, v20, v19, -v14
	s_delay_alu instid0(VALU_DEP_3) | instskip(SKIP_1) | instid1(VALU_DEP_4)
	v_fma_f16 v1, 0.5, v5, v21
	v_fma_f16 v5, v5, 0.5, -v21
	v_fma_f16 v19, -v17, v18, v29
	s_delay_alu instid0(VALU_DEP_4)
	v_fma_f16 v14, -v17, v18, v14
	ds_store_b16 v15, v19 offset:2
	ds_store_b16 v16, v14 offset:16386
	v_fmac_f16_e32 v1, v17, v20
	v_fma_f16 v17, -v17, v20, v5
                                        ; implicit-def: $vgpr14
                                        ; implicit-def: $vgpr5
.LBB0_15:
	s_and_not1_saveexec_b32 s0, s5
	s_cbranch_execz .LBB0_17
; %bb.16:
	v_mov_b32_e32 v18, 0
	v_add_f16_e32 v1, v14, v5
	ds_store_b16 v15, v18 offset:2
	ds_store_b16 v16, v18 offset:16386
	ds_load_u16 v17, v18 offset:8194
	s_waitcnt lgkmcnt(0)
	v_xor_b32_e32 v19, 0x8000, v17
	v_sub_f16_e32 v17, v5, v14
	ds_store_b16 v18, v19 offset:8194
.LBB0_17:
	s_or_b32 exec_lo, exec_lo, s0
	v_mov_b32_e32 v5, 0
	s_delay_alu instid0(VALU_DEP_1) | instskip(SKIP_1) | instid1(VALU_DEP_1)
	v_lshlrev_b64 v[18:19], 2, v[4:5]
	v_mov_b32_e32 v14, v5
	v_lshlrev_b64 v[13:14], 2, v[13:14]
	s_delay_alu instid0(VALU_DEP_3) | instskip(NEXT) | instid1(VALU_DEP_1)
	v_add_co_u32 v18, s0, s1, v18
	v_add_co_ci_u32_e64 v19, s0, s4, v19, s0
	s_delay_alu instid0(VALU_DEP_3) | instskip(SKIP_4) | instid1(VALU_DEP_1)
	v_add_co_u32 v13, s0, s1, v13
	global_load_b32 v4, v[18:19], off
	v_add_co_ci_u32_e64 v14, s0, s4, v14, s0
	global_load_b32 v14, v[13:14], off
	v_mov_b32_e32 v13, v5
	v_lshlrev_b64 v[12:13], 2, v[12:13]
	s_delay_alu instid0(VALU_DEP_1) | instskip(NEXT) | instid1(VALU_DEP_1)
	v_add_co_u32 v12, s0, s1, v12
	v_add_co_ci_u32_e64 v13, s0, s4, v13, s0
	global_load_b32 v13, v[12:13], off
	v_mov_b32_e32 v12, v5
	s_delay_alu instid0(VALU_DEP_1) | instskip(NEXT) | instid1(VALU_DEP_1)
	v_lshlrev_b64 v[11:12], 2, v[11:12]
	v_add_co_u32 v11, s0, s1, v11
	s_delay_alu instid0(VALU_DEP_1) | instskip(SKIP_2) | instid1(VALU_DEP_1)
	v_add_co_ci_u32_e64 v12, s0, s4, v12, s0
	global_load_b32 v12, v[11:12], off
	v_mov_b32_e32 v11, v5
	v_lshlrev_b64 v[10:11], 2, v[10:11]
	s_delay_alu instid0(VALU_DEP_1) | instskip(NEXT) | instid1(VALU_DEP_1)
	v_add_co_u32 v10, s0, s1, v10
	v_add_co_ci_u32_e64 v11, s0, s4, v11, s0
	global_load_b32 v11, v[10:11], off
	v_mov_b32_e32 v10, v5
	ds_store_b16 v15, v1
	ds_store_b16 v16, v17 offset:16384
	ds_load_b32 v1, v28
	ds_load_b32 v15, v16 offset:15360
	v_lshlrev_b64 v[9:10], 2, v[9:10]
	s_delay_alu instid0(VALU_DEP_1) | instskip(NEXT) | instid1(VALU_DEP_1)
	v_add_co_u32 v9, s0, s1, v9
	v_add_co_ci_u32_e64 v10, s0, s4, v10, s0
	global_load_b32 v10, v[9:10], off
	v_mov_b32_e32 v9, v5
	s_waitcnt lgkmcnt(0)
	v_pk_add_f16 v17, v1, v15 neg_lo:[0,1] neg_hi:[0,1]
	v_pk_add_f16 v1, v1, v15
	s_delay_alu instid0(VALU_DEP_3) | instskip(NEXT) | instid1(VALU_DEP_2)
	v_lshlrev_b64 v[8:9], 2, v[8:9]
	v_bfi_b32 v15, 0xffff, v17, v1
	v_bfi_b32 v1, 0xffff, v1, v17
	s_delay_alu instid0(VALU_DEP_3) | instskip(NEXT) | instid1(VALU_DEP_1)
	v_add_co_u32 v8, s0, s1, v8
	v_add_co_ci_u32_e64 v9, s0, s4, v9, s0
	s_delay_alu instid0(VALU_DEP_4) | instskip(NEXT) | instid1(VALU_DEP_4)
	v_pk_mul_f16 v15, v15, 0.5 op_sel_hi:[1,0]
	v_pk_mul_f16 v1, v1, 0.5 op_sel_hi:[1,0]
	global_load_b32 v8, v[8:9], off
	s_waitcnt vmcnt(6)
	v_pk_fma_f16 v9, v4, v15, v1 op_sel:[1,0,0]
	v_pk_mul_f16 v17, v4, v15 op_sel_hi:[0,1]
	v_pk_fma_f16 v18, v4, v15, v1 op_sel:[1,0,0] neg_lo:[1,0,0] neg_hi:[1,0,0]
	v_pk_fma_f16 v1, v4, v15, v1 op_sel:[1,0,0] neg_lo:[0,0,1] neg_hi:[0,0,1]
	s_delay_alu instid0(VALU_DEP_3) | instskip(SKIP_1) | instid1(VALU_DEP_4)
	v_pk_add_f16 v4, v9, v17 op_sel:[0,1] op_sel_hi:[1,0]
	v_pk_add_f16 v9, v9, v17 op_sel:[0,1] op_sel_hi:[1,0] neg_lo:[0,1] neg_hi:[0,1]
	v_pk_add_f16 v15, v18, v17 op_sel:[0,1] op_sel_hi:[1,0] neg_lo:[0,1] neg_hi:[0,1]
	s_delay_alu instid0(VALU_DEP_4) | instskip(NEXT) | instid1(VALU_DEP_3)
	v_pk_add_f16 v1, v1, v17 op_sel:[0,1] op_sel_hi:[1,0] neg_lo:[0,1] neg_hi:[0,1]
	v_bfi_b32 v4, 0xffff, v4, v9
	s_delay_alu instid0(VALU_DEP_2)
	v_bfi_b32 v1, 0xffff, v15, v1
	ds_store_b32 v28, v4
	ds_store_b32 v16, v1 offset:15360
	ds_load_b32 v1, v27
	ds_load_b32 v4, v16 offset:14336
	s_waitcnt lgkmcnt(0)
	v_pk_add_f16 v9, v1, v4 neg_lo:[0,1] neg_hi:[0,1]
	v_pk_add_f16 v1, v1, v4
	s_delay_alu instid0(VALU_DEP_1) | instskip(SKIP_1) | instid1(VALU_DEP_2)
	v_bfi_b32 v4, 0xffff, v9, v1
	v_bfi_b32 v1, 0xffff, v1, v9
	v_pk_mul_f16 v4, v4, 0.5 op_sel_hi:[1,0]
	s_delay_alu instid0(VALU_DEP_2) | instskip(SKIP_1) | instid1(VALU_DEP_2)
	v_pk_mul_f16 v1, v1, 0.5 op_sel_hi:[1,0]
	s_waitcnt vmcnt(5)
	v_pk_mul_f16 v15, v14, v4 op_sel_hi:[0,1]
	s_delay_alu instid0(VALU_DEP_2) | instskip(SKIP_2) | instid1(VALU_DEP_3)
	v_pk_fma_f16 v9, v14, v4, v1 op_sel:[1,0,0]
	v_pk_fma_f16 v17, v14, v4, v1 op_sel:[1,0,0] neg_lo:[1,0,0] neg_hi:[1,0,0]
	v_pk_fma_f16 v1, v14, v4, v1 op_sel:[1,0,0] neg_lo:[0,0,1] neg_hi:[0,0,1]
	v_pk_add_f16 v4, v9, v15 op_sel:[0,1] op_sel_hi:[1,0]
	v_pk_add_f16 v9, v9, v15 op_sel:[0,1] op_sel_hi:[1,0] neg_lo:[0,1] neg_hi:[0,1]
	s_delay_alu instid0(VALU_DEP_4) | instskip(NEXT) | instid1(VALU_DEP_4)
	v_pk_add_f16 v14, v17, v15 op_sel:[0,1] op_sel_hi:[1,0] neg_lo:[0,1] neg_hi:[0,1]
	v_pk_add_f16 v1, v1, v15 op_sel:[0,1] op_sel_hi:[1,0] neg_lo:[0,1] neg_hi:[0,1]
	s_delay_alu instid0(VALU_DEP_3) | instskip(NEXT) | instid1(VALU_DEP_2)
	v_bfi_b32 v4, 0xffff, v4, v9
	v_bfi_b32 v1, 0xffff, v14, v1
	ds_store_b32 v27, v4
	ds_store_b32 v16, v1 offset:14336
	ds_load_b32 v1, v26
	ds_load_b32 v4, v16 offset:13312
	s_waitcnt lgkmcnt(0)
	v_pk_add_f16 v9, v1, v4 neg_lo:[0,1] neg_hi:[0,1]
	v_pk_add_f16 v1, v1, v4
	s_delay_alu instid0(VALU_DEP_1) | instskip(SKIP_1) | instid1(VALU_DEP_2)
	v_bfi_b32 v4, 0xffff, v9, v1
	v_bfi_b32 v1, 0xffff, v1, v9
	v_pk_mul_f16 v4, v4, 0.5 op_sel_hi:[1,0]
	s_delay_alu instid0(VALU_DEP_2) | instskip(SKIP_1) | instid1(VALU_DEP_2)
	v_pk_mul_f16 v9, v1, 0.5 op_sel_hi:[1,0]
	s_waitcnt vmcnt(4)
	v_pk_mul_f16 v14, v13, v4 op_sel:[1,0]
	v_pk_mul_f16 v4, v13, v4 op_sel_hi:[0,1]
	s_delay_alu instid0(VALU_DEP_3) | instskip(NEXT) | instid1(VALU_DEP_3)
	v_lshrrev_b32_e32 v13, 16, v9
	v_lshrrev_b32_e32 v15, 16, v14
	v_pk_fma_f16 v1, v1, 0.5, v14 op_sel_hi:[1,0,1]
	v_sub_f16_e32 v9, v9, v14
	s_delay_alu instid0(VALU_DEP_3) | instskip(NEXT) | instid1(VALU_DEP_3)
	v_sub_f16_e32 v13, v15, v13
	v_pk_add_f16 v14, v1, v4 op_sel:[0,1] op_sel_hi:[1,0]
	v_pk_add_f16 v1, v1, v4 op_sel:[0,1] op_sel_hi:[1,0] neg_lo:[0,1] neg_hi:[0,1]
	v_lshrrev_b32_e32 v15, 16, v4
	s_delay_alu instid0(VALU_DEP_4) | instskip(NEXT) | instid1(VALU_DEP_3)
	v_sub_f16_e32 v4, v13, v4
	v_bfi_b32 v1, 0xffff, v14, v1
	s_delay_alu instid0(VALU_DEP_3)
	v_sub_f16_e32 v9, v9, v15
	ds_store_b16 v16, v4 offset:13314
	ds_store_b32 v26, v1
	ds_store_b16 v16, v9 offset:13312
	ds_load_b32 v1, v25
	ds_load_b32 v4, v16 offset:12288
	s_waitcnt lgkmcnt(0)
	v_pk_add_f16 v9, v1, v4 neg_lo:[0,1] neg_hi:[0,1]
	v_pk_add_f16 v1, v1, v4
	s_delay_alu instid0(VALU_DEP_1) | instskip(SKIP_1) | instid1(VALU_DEP_2)
	v_bfi_b32 v4, 0xffff, v9, v1
	v_bfi_b32 v1, 0xffff, v1, v9
	v_pk_mul_f16 v4, v4, 0.5 op_sel_hi:[1,0]
	s_delay_alu instid0(VALU_DEP_2) | instskip(SKIP_1) | instid1(VALU_DEP_2)
	v_pk_mul_f16 v1, v1, 0.5 op_sel_hi:[1,0]
	s_waitcnt vmcnt(3)
	v_pk_mul_f16 v13, v12, v4 op_sel_hi:[0,1]
	s_delay_alu instid0(VALU_DEP_2) | instskip(SKIP_2) | instid1(VALU_DEP_3)
	v_pk_fma_f16 v9, v12, v4, v1 op_sel:[1,0,0]
	v_pk_fma_f16 v14, v12, v4, v1 op_sel:[1,0,0] neg_lo:[1,0,0] neg_hi:[1,0,0]
	v_pk_fma_f16 v1, v12, v4, v1 op_sel:[1,0,0] neg_lo:[0,0,1] neg_hi:[0,0,1]
	v_pk_add_f16 v4, v9, v13 op_sel:[0,1] op_sel_hi:[1,0]
	v_pk_add_f16 v9, v9, v13 op_sel:[0,1] op_sel_hi:[1,0] neg_lo:[0,1] neg_hi:[0,1]
	s_delay_alu instid0(VALU_DEP_4) | instskip(NEXT) | instid1(VALU_DEP_4)
	v_pk_add_f16 v12, v14, v13 op_sel:[0,1] op_sel_hi:[1,0] neg_lo:[0,1] neg_hi:[0,1]
	v_pk_add_f16 v1, v1, v13 op_sel:[0,1] op_sel_hi:[1,0] neg_lo:[0,1] neg_hi:[0,1]
	s_delay_alu instid0(VALU_DEP_3) | instskip(NEXT) | instid1(VALU_DEP_2)
	v_bfi_b32 v4, 0xffff, v4, v9
	v_bfi_b32 v1, 0xffff, v12, v1
	ds_store_b32 v25, v4
	ds_store_b32 v16, v1 offset:12288
	ds_load_b32 v1, v24
	ds_load_b32 v4, v16 offset:11264
	s_waitcnt lgkmcnt(0)
	v_pk_add_f16 v9, v1, v4 neg_lo:[0,1] neg_hi:[0,1]
	v_pk_add_f16 v1, v1, v4
	s_delay_alu instid0(VALU_DEP_1) | instskip(SKIP_1) | instid1(VALU_DEP_2)
	v_bfi_b32 v4, 0xffff, v9, v1
	v_bfi_b32 v1, 0xffff, v1, v9
	v_pk_mul_f16 v4, v4, 0.5 op_sel_hi:[1,0]
	s_delay_alu instid0(VALU_DEP_2) | instskip(SKIP_1) | instid1(VALU_DEP_2)
	v_pk_mul_f16 v9, v1, 0.5 op_sel_hi:[1,0]
	s_waitcnt vmcnt(2)
	v_pk_mul_f16 v12, v11, v4 op_sel:[1,0]
	v_pk_mul_f16 v4, v11, v4 op_sel_hi:[0,1]
	s_delay_alu instid0(VALU_DEP_3) | instskip(NEXT) | instid1(VALU_DEP_3)
	v_lshrrev_b32_e32 v11, 16, v9
	v_lshrrev_b32_e32 v13, 16, v12
	v_pk_fma_f16 v1, v1, 0.5, v12 op_sel_hi:[1,0,1]
	v_sub_f16_e32 v9, v9, v12
	s_delay_alu instid0(VALU_DEP_3) | instskip(NEXT) | instid1(VALU_DEP_3)
	v_sub_f16_e32 v11, v13, v11
	v_pk_add_f16 v12, v1, v4 op_sel:[0,1] op_sel_hi:[1,0]
	v_pk_add_f16 v1, v1, v4 op_sel:[0,1] op_sel_hi:[1,0] neg_lo:[0,1] neg_hi:[0,1]
	v_lshrrev_b32_e32 v13, 16, v4
	s_delay_alu instid0(VALU_DEP_4) | instskip(NEXT) | instid1(VALU_DEP_3)
	v_sub_f16_e32 v4, v11, v4
	v_bfi_b32 v1, 0xffff, v12, v1
	s_delay_alu instid0(VALU_DEP_3)
	v_sub_f16_e32 v9, v9, v13
	ds_store_b16 v16, v4 offset:11266
	ds_store_b32 v24, v1
	ds_store_b16 v16, v9 offset:11264
	ds_load_b32 v1, v23
	ds_load_b32 v4, v16 offset:10240
	s_waitcnt lgkmcnt(0)
	v_pk_add_f16 v9, v1, v4 neg_lo:[0,1] neg_hi:[0,1]
	v_pk_add_f16 v1, v1, v4
	s_delay_alu instid0(VALU_DEP_1) | instskip(SKIP_1) | instid1(VALU_DEP_2)
	v_bfi_b32 v4, 0xffff, v9, v1
	v_bfi_b32 v1, 0xffff, v1, v9
	v_pk_mul_f16 v4, v4, 0.5 op_sel_hi:[1,0]
	s_delay_alu instid0(VALU_DEP_2) | instskip(SKIP_1) | instid1(VALU_DEP_2)
	v_pk_mul_f16 v9, v1, 0.5 op_sel_hi:[1,0]
	s_waitcnt vmcnt(1)
	v_pk_mul_f16 v11, v10, v4 op_sel:[1,0]
	v_pk_mul_f16 v4, v10, v4 op_sel_hi:[0,1]
	s_delay_alu instid0(VALU_DEP_3) | instskip(NEXT) | instid1(VALU_DEP_3)
	v_lshrrev_b32_e32 v10, 16, v9
	v_lshrrev_b32_e32 v12, 16, v11
	v_pk_fma_f16 v1, v1, 0.5, v11 op_sel_hi:[1,0,1]
	v_sub_f16_e32 v9, v9, v11
	s_delay_alu instid0(VALU_DEP_3) | instskip(NEXT) | instid1(VALU_DEP_3)
	v_sub_f16_e32 v10, v12, v10
	v_pk_add_f16 v11, v1, v4 op_sel:[0,1] op_sel_hi:[1,0]
	v_pk_add_f16 v1, v1, v4 op_sel:[0,1] op_sel_hi:[1,0] neg_lo:[0,1] neg_hi:[0,1]
	v_lshrrev_b32_e32 v12, 16, v4
	s_delay_alu instid0(VALU_DEP_4) | instskip(NEXT) | instid1(VALU_DEP_3)
	v_sub_f16_e32 v4, v10, v4
	v_bfi_b32 v1, 0xffff, v11, v1
	s_delay_alu instid0(VALU_DEP_3)
	v_sub_f16_e32 v9, v9, v12
	ds_store_b16 v16, v4 offset:10242
	ds_store_b32 v23, v1
	ds_store_b16 v16, v9 offset:10240
	;; [unrolled: 32-line block ×3, first 2 shown]
	s_waitcnt lgkmcnt(0)
	s_barrier
	buffer_gl0_inv
	s_and_saveexec_b32 s0, vcc_lo
	s_cbranch_execz .LBB0_20
; %bb.18:
	v_mul_lo_u32 v1, s3, v6
	v_mul_lo_u32 v4, s2, v7
	v_mad_u64_u32 v[7:8], null, s2, v6, 0
	v_lshlrev_b64 v[2:3], 2, v[2:3]
	v_lshl_add_u32 v32, v0, 2, 0
	ds_load_2addr_stride64_b32 v[20:21], v32 offset0:16 offset1:20
	v_add3_u32 v8, v8, v4, v1
	v_dual_mov_b32 v1, v5 :: v_dual_add_nc_u32 v4, 0x100, v0
	ds_load_2addr_stride64_b32 v[24:25], v32 offset0:24 offset1:28
	v_lshlrev_b64 v[6:7], 2, v[7:8]
	v_lshlrev_b64 v[10:11], 2, v[0:1]
	;; [unrolled: 1-line block ×3, first 2 shown]
	v_add_nc_u32_e32 v4, 0x200, v0
	ds_load_2addr_stride64_b32 v[8:9], v32 offset1:4
	v_add_co_u32 v1, vcc_lo, s6, v6
	v_add_co_ci_u32_e32 v14, vcc_lo, s7, v7, vcc_lo
	v_lshlrev_b64 v[6:7], 2, v[4:5]
	v_add_nc_u32_e32 v4, 0x300, v0
	s_delay_alu instid0(VALU_DEP_4) | instskip(NEXT) | instid1(VALU_DEP_4)
	v_add_co_u32 v1, vcc_lo, v1, v2
	v_add_co_ci_u32_e32 v2, vcc_lo, v14, v3, vcc_lo
	s_delay_alu instid0(VALU_DEP_3) | instskip(SKIP_1) | instid1(VALU_DEP_4)
	v_lshlrev_b64 v[16:17], 2, v[4:5]
	v_add_nc_u32_e32 v4, 0x400, v0
	v_add_co_u32 v10, vcc_lo, v1, v10
	s_delay_alu instid0(VALU_DEP_4) | instskip(NEXT) | instid1(VALU_DEP_3)
	v_add_co_ci_u32_e32 v11, vcc_lo, v2, v11, vcc_lo
	v_lshlrev_b64 v[18:19], 2, v[4:5]
	v_add_nc_u32_e32 v4, 0x500, v0
	v_add_co_u32 v12, vcc_lo, v1, v12
	v_add_co_ci_u32_e32 v13, vcc_lo, v2, v13, vcc_lo
	s_delay_alu instid0(VALU_DEP_3)
	v_lshlrev_b64 v[22:23], 2, v[4:5]
	v_add_nc_u32_e32 v4, 0x600, v0
	ds_load_2addr_stride64_b32 v[14:15], v32 offset0:8 offset1:12
	v_add_co_u32 v6, vcc_lo, v1, v6
	v_add_co_ci_u32_e32 v7, vcc_lo, v2, v7, vcc_lo
	v_lshlrev_b64 v[26:27], 2, v[4:5]
	v_add_nc_u32_e32 v4, 0x700, v0
	v_add_co_u32 v16, vcc_lo, v1, v16
	v_add_co_ci_u32_e32 v17, vcc_lo, v2, v17, vcc_lo
	v_add_co_u32 v18, vcc_lo, v1, v18
	s_delay_alu instid0(VALU_DEP_4)
	v_lshlrev_b64 v[28:29], 2, v[4:5]
	v_add_nc_u32_e32 v4, 0x800, v0
	v_add_co_ci_u32_e32 v19, vcc_lo, v2, v19, vcc_lo
	v_add_co_u32 v22, vcc_lo, v1, v22
	v_add_co_ci_u32_e32 v23, vcc_lo, v2, v23, vcc_lo
	v_add_co_u32 v26, vcc_lo, v1, v26
	v_lshlrev_b64 v[30:31], 2, v[4:5]
	v_add_nc_u32_e32 v4, 0x900, v0
	v_add_co_ci_u32_e32 v27, vcc_lo, v2, v27, vcc_lo
	v_add_co_u32 v28, vcc_lo, v1, v28
	v_add_co_ci_u32_e32 v29, vcc_lo, v2, v29, vcc_lo
	s_waitcnt lgkmcnt(1)
	s_clause 0x1
	global_store_b32 v[10:11], v8, off
	global_store_b32 v[12:13], v9, off
	s_waitcnt lgkmcnt(0)
	s_clause 0x5
	global_store_b32 v[6:7], v14, off
	global_store_b32 v[16:17], v15, off
	;; [unrolled: 1-line block ×6, first 2 shown]
	v_lshlrev_b64 v[8:9], 2, v[4:5]
	v_add_nc_u32_e32 v4, 0xa00, v0
	v_add_co_u32 v10, vcc_lo, v1, v30
	v_add_co_ci_u32_e32 v11, vcc_lo, v2, v31, vcc_lo
	s_delay_alu instid0(VALU_DEP_3) | instskip(SKIP_3) | instid1(VALU_DEP_3)
	v_lshlrev_b64 v[12:13], 2, v[4:5]
	v_add_nc_u32_e32 v4, 0xb00, v0
	v_add_co_u32 v8, vcc_lo, v1, v8
	v_add_co_ci_u32_e32 v9, vcc_lo, v2, v9, vcc_lo
	v_lshlrev_b64 v[16:17], 2, v[4:5]
	v_add_nc_u32_e32 v4, 0xc00, v0
	v_add_co_u32 v12, vcc_lo, v1, v12
	v_add_co_ci_u32_e32 v13, vcc_lo, v2, v13, vcc_lo
	s_delay_alu instid0(VALU_DEP_3)
	v_lshlrev_b64 v[18:19], 2, v[4:5]
	v_add_nc_u32_e32 v4, 0xd00, v0
	ds_load_2addr_stride64_b32 v[6:7], v32 offset0:32 offset1:36
	v_add_co_u32 v16, vcc_lo, v1, v16
	ds_load_2addr_stride64_b32 v[14:15], v32 offset0:40 offset1:44
	v_lshlrev_b64 v[22:23], 2, v[4:5]
	v_add_nc_u32_e32 v4, 0xe00, v0
	v_add_co_ci_u32_e32 v17, vcc_lo, v2, v17, vcc_lo
	v_add_co_u32 v18, vcc_lo, v1, v18
	s_delay_alu instid0(VALU_DEP_3)
	v_lshlrev_b64 v[26:27], 2, v[4:5]
	v_add_nc_u32_e32 v4, 0xf00, v0
	ds_load_2addr_stride64_b32 v[20:21], v32 offset0:48 offset1:52
	v_add_co_ci_u32_e32 v19, vcc_lo, v2, v19, vcc_lo
	ds_load_2addr_stride64_b32 v[24:25], v32 offset0:56 offset1:60
	v_add_co_u32 v22, vcc_lo, v1, v22
	v_lshlrev_b64 v[3:4], 2, v[4:5]
	v_add_co_ci_u32_e32 v23, vcc_lo, v2, v23, vcc_lo
	v_add_co_u32 v26, vcc_lo, v1, v26
	v_add_co_ci_u32_e32 v27, vcc_lo, v2, v27, vcc_lo
	s_delay_alu instid0(VALU_DEP_4)
	v_add_co_u32 v3, vcc_lo, v1, v3
	v_add_co_ci_u32_e32 v4, vcc_lo, v2, v4, vcc_lo
	v_cmp_eq_u32_e32 vcc_lo, 0xff, v0
	s_waitcnt lgkmcnt(3)
	s_clause 0x1
	global_store_b32 v[10:11], v6, off
	global_store_b32 v[8:9], v7, off
	s_waitcnt lgkmcnt(2)
	s_clause 0x1
	global_store_b32 v[12:13], v14, off
	global_store_b32 v[16:17], v15, off
	;; [unrolled: 4-line block ×4, first 2 shown]
	s_and_b32 exec_lo, exec_lo, vcc_lo
	s_cbranch_execz .LBB0_20
; %bb.19:
	v_mov_b32_e32 v0, 0
	ds_load_b32 v3, v0 offset:16384
	v_add_co_u32 v0, vcc_lo, 0x4000, v1
	v_add_co_ci_u32_e32 v1, vcc_lo, 0, v2, vcc_lo
	s_waitcnt lgkmcnt(0)
	global_store_b32 v[0:1], v3, off
.LBB0_20:
	s_nop 0
	s_sendmsg sendmsg(MSG_DEALLOC_VGPRS)
	s_endpgm
	.section	.rodata,"a",@progbits
	.p2align	6, 0x0
	.amdhsa_kernel fft_rtc_fwd_len4096_factors_16_16_16_wgs_256_tpt_256_halfLds_half_op_CI_CI_unitstride_sbrr_R2C_dirReg
		.amdhsa_group_segment_fixed_size 0
		.amdhsa_private_segment_fixed_size 0
		.amdhsa_kernarg_size 104
		.amdhsa_user_sgpr_count 15
		.amdhsa_user_sgpr_dispatch_ptr 0
		.amdhsa_user_sgpr_queue_ptr 0
		.amdhsa_user_sgpr_kernarg_segment_ptr 1
		.amdhsa_user_sgpr_dispatch_id 0
		.amdhsa_user_sgpr_private_segment_size 0
		.amdhsa_wavefront_size32 1
		.amdhsa_uses_dynamic_stack 0
		.amdhsa_enable_private_segment 0
		.amdhsa_system_sgpr_workgroup_id_x 1
		.amdhsa_system_sgpr_workgroup_id_y 0
		.amdhsa_system_sgpr_workgroup_id_z 0
		.amdhsa_system_sgpr_workgroup_info 0
		.amdhsa_system_vgpr_workitem_id 0
		.amdhsa_next_free_vgpr 88
		.amdhsa_next_free_sgpr 27
		.amdhsa_reserve_vcc 1
		.amdhsa_float_round_mode_32 0
		.amdhsa_float_round_mode_16_64 0
		.amdhsa_float_denorm_mode_32 3
		.amdhsa_float_denorm_mode_16_64 3
		.amdhsa_dx10_clamp 1
		.amdhsa_ieee_mode 1
		.amdhsa_fp16_overflow 0
		.amdhsa_workgroup_processor_mode 1
		.amdhsa_memory_ordered 1
		.amdhsa_forward_progress 0
		.amdhsa_shared_vgpr_count 0
		.amdhsa_exception_fp_ieee_invalid_op 0
		.amdhsa_exception_fp_denorm_src 0
		.amdhsa_exception_fp_ieee_div_zero 0
		.amdhsa_exception_fp_ieee_overflow 0
		.amdhsa_exception_fp_ieee_underflow 0
		.amdhsa_exception_fp_ieee_inexact 0
		.amdhsa_exception_int_div_zero 0
	.end_amdhsa_kernel
	.text
.Lfunc_end0:
	.size	fft_rtc_fwd_len4096_factors_16_16_16_wgs_256_tpt_256_halfLds_half_op_CI_CI_unitstride_sbrr_R2C_dirReg, .Lfunc_end0-fft_rtc_fwd_len4096_factors_16_16_16_wgs_256_tpt_256_halfLds_half_op_CI_CI_unitstride_sbrr_R2C_dirReg
                                        ; -- End function
	.section	.AMDGPU.csdata,"",@progbits
; Kernel info:
; codeLenInByte = 10260
; NumSgprs: 29
; NumVgprs: 88
; ScratchSize: 0
; MemoryBound: 0
; FloatMode: 240
; IeeeMode: 1
; LDSByteSize: 0 bytes/workgroup (compile time only)
; SGPRBlocks: 3
; VGPRBlocks: 10
; NumSGPRsForWavesPerEU: 29
; NumVGPRsForWavesPerEU: 88
; Occupancy: 16
; WaveLimiterHint : 1
; COMPUTE_PGM_RSRC2:SCRATCH_EN: 0
; COMPUTE_PGM_RSRC2:USER_SGPR: 15
; COMPUTE_PGM_RSRC2:TRAP_HANDLER: 0
; COMPUTE_PGM_RSRC2:TGID_X_EN: 1
; COMPUTE_PGM_RSRC2:TGID_Y_EN: 0
; COMPUTE_PGM_RSRC2:TGID_Z_EN: 0
; COMPUTE_PGM_RSRC2:TIDIG_COMP_CNT: 0
	.text
	.p2alignl 7, 3214868480
	.fill 96, 4, 3214868480
	.type	__hip_cuid_f0fb50e8e6de1b7f,@object ; @__hip_cuid_f0fb50e8e6de1b7f
	.section	.bss,"aw",@nobits
	.globl	__hip_cuid_f0fb50e8e6de1b7f
__hip_cuid_f0fb50e8e6de1b7f:
	.byte	0                               ; 0x0
	.size	__hip_cuid_f0fb50e8e6de1b7f, 1

	.ident	"AMD clang version 19.0.0git (https://github.com/RadeonOpenCompute/llvm-project roc-6.4.0 25133 c7fe45cf4b819c5991fe208aaa96edf142730f1d)"
	.section	".note.GNU-stack","",@progbits
	.addrsig
	.addrsig_sym __hip_cuid_f0fb50e8e6de1b7f
	.amdgpu_metadata
---
amdhsa.kernels:
  - .args:
      - .actual_access:  read_only
        .address_space:  global
        .offset:         0
        .size:           8
        .value_kind:     global_buffer
      - .offset:         8
        .size:           8
        .value_kind:     by_value
      - .actual_access:  read_only
        .address_space:  global
        .offset:         16
        .size:           8
        .value_kind:     global_buffer
      - .actual_access:  read_only
        .address_space:  global
        .offset:         24
        .size:           8
        .value_kind:     global_buffer
      - .actual_access:  read_only
        .address_space:  global
        .offset:         32
        .size:           8
        .value_kind:     global_buffer
      - .offset:         40
        .size:           8
        .value_kind:     by_value
      - .actual_access:  read_only
        .address_space:  global
        .offset:         48
        .size:           8
        .value_kind:     global_buffer
      - .actual_access:  read_only
        .address_space:  global
        .offset:         56
        .size:           8
        .value_kind:     global_buffer
      - .offset:         64
        .size:           4
        .value_kind:     by_value
      - .actual_access:  read_only
        .address_space:  global
        .offset:         72
        .size:           8
        .value_kind:     global_buffer
      - .actual_access:  read_only
        .address_space:  global
        .offset:         80
        .size:           8
        .value_kind:     global_buffer
      - .actual_access:  read_only
        .address_space:  global
        .offset:         88
        .size:           8
        .value_kind:     global_buffer
      - .actual_access:  write_only
        .address_space:  global
        .offset:         96
        .size:           8
        .value_kind:     global_buffer
    .group_segment_fixed_size: 0
    .kernarg_segment_align: 8
    .kernarg_segment_size: 104
    .language:       OpenCL C
    .language_version:
      - 2
      - 0
    .max_flat_workgroup_size: 256
    .name:           fft_rtc_fwd_len4096_factors_16_16_16_wgs_256_tpt_256_halfLds_half_op_CI_CI_unitstride_sbrr_R2C_dirReg
    .private_segment_fixed_size: 0
    .sgpr_count:     29
    .sgpr_spill_count: 0
    .symbol:         fft_rtc_fwd_len4096_factors_16_16_16_wgs_256_tpt_256_halfLds_half_op_CI_CI_unitstride_sbrr_R2C_dirReg.kd
    .uniform_work_group_size: 1
    .uses_dynamic_stack: false
    .vgpr_count:     88
    .vgpr_spill_count: 0
    .wavefront_size: 32
    .workgroup_processor_mode: 1
amdhsa.target:   amdgcn-amd-amdhsa--gfx1100
amdhsa.version:
  - 1
  - 2
...

	.end_amdgpu_metadata
